;; amdgpu-corpus repo=ROCm/rocFFT kind=compiled arch=gfx950 opt=O3
	.text
	.amdgcn_target "amdgcn-amd-amdhsa--gfx950"
	.amdhsa_code_object_version 6
	.protected	fft_rtc_fwd_len1617_factors_3_7_7_11_wgs_231_tpt_231_sp_op_CI_CI_sbrr_dirReg ; -- Begin function fft_rtc_fwd_len1617_factors_3_7_7_11_wgs_231_tpt_231_sp_op_CI_CI_sbrr_dirReg
	.globl	fft_rtc_fwd_len1617_factors_3_7_7_11_wgs_231_tpt_231_sp_op_CI_CI_sbrr_dirReg
	.p2align	8
	.type	fft_rtc_fwd_len1617_factors_3_7_7_11_wgs_231_tpt_231_sp_op_CI_CI_sbrr_dirReg,@function
fft_rtc_fwd_len1617_factors_3_7_7_11_wgs_231_tpt_231_sp_op_CI_CI_sbrr_dirReg: ; @fft_rtc_fwd_len1617_factors_3_7_7_11_wgs_231_tpt_231_sp_op_CI_CI_sbrr_dirReg
; %bb.0:
	s_load_dwordx4 s[12:15], s[0:1], 0x18
	s_load_dwordx4 s[8:11], s[0:1], 0x0
	;; [unrolled: 1-line block ×3, first 2 shown]
	v_mul_u32_u24_e32 v1, 0x11c, v0
	v_add_u32_sdwa v6, s2, v1 dst_sel:DWORD dst_unused:UNUSED_PAD src0_sel:DWORD src1_sel:WORD_1
	s_waitcnt lgkmcnt(0)
	s_load_dwordx2 s[18:19], s[12:13], 0x0
	s_load_dwordx2 s[16:17], s[14:15], 0x0
	v_mov_b32_e32 v4, 0
	v_cmp_lt_u64_e64 s[2:3], s[10:11], 2
	v_mov_b32_e32 v7, v4
	s_and_b64 vcc, exec, s[2:3]
	v_mov_b64_e32 v[2:3], 0
	s_cbranch_vccnz .LBB0_8
; %bb.1:
	s_load_dwordx2 s[2:3], s[0:1], 0x10
	s_add_u32 s20, s14, 8
	s_addc_u32 s21, s15, 0
	s_add_u32 s22, s12, 8
	s_addc_u32 s23, s13, 0
	s_waitcnt lgkmcnt(0)
	s_add_u32 s24, s2, 8
	v_mov_b64_e32 v[2:3], 0
	s_addc_u32 s25, s3, 0
	s_mov_b64 s[26:27], 1
	v_mov_b64_e32 v[20:21], v[2:3]
.LBB0_2:                                ; =>This Inner Loop Header: Depth=1
	s_load_dwordx2 s[28:29], s[24:25], 0x0
                                        ; implicit-def: $vgpr22_vgpr23
	s_waitcnt lgkmcnt(0)
	v_or_b32_e32 v5, s29, v7
	v_cmp_ne_u64_e32 vcc, 0, v[4:5]
	s_and_saveexec_b64 s[2:3], vcc
	s_xor_b64 s[30:31], exec, s[2:3]
	s_cbranch_execz .LBB0_4
; %bb.3:                                ;   in Loop: Header=BB0_2 Depth=1
	v_cvt_f32_u32_e32 v1, s28
	v_cvt_f32_u32_e32 v5, s29
	s_sub_u32 s2, 0, s28
	s_subb_u32 s3, 0, s29
	v_fmac_f32_e32 v1, 0x4f800000, v5
	v_rcp_f32_e32 v1, v1
	s_nop 0
	v_mul_f32_e32 v1, 0x5f7ffffc, v1
	v_mul_f32_e32 v5, 0x2f800000, v1
	v_trunc_f32_e32 v5, v5
	v_fmac_f32_e32 v1, 0xcf800000, v5
	v_cvt_u32_f32_e32 v5, v5
	v_cvt_u32_f32_e32 v1, v1
	v_mul_lo_u32 v8, s2, v5
	v_mul_hi_u32 v10, s2, v1
	v_mul_lo_u32 v9, s3, v1
	v_add_u32_e32 v10, v10, v8
	v_mul_lo_u32 v12, s2, v1
	v_add_u32_e32 v13, v10, v9
	v_mul_hi_u32 v8, v1, v12
	v_mul_hi_u32 v11, v1, v13
	v_mul_lo_u32 v10, v1, v13
	v_mov_b32_e32 v9, v4
	v_lshl_add_u64 v[8:9], v[8:9], 0, v[10:11]
	v_mul_hi_u32 v11, v5, v12
	v_mul_lo_u32 v12, v5, v12
	v_add_co_u32_e32 v8, vcc, v8, v12
	v_mul_hi_u32 v10, v5, v13
	s_nop 0
	v_addc_co_u32_e32 v8, vcc, v9, v11, vcc
	v_mov_b32_e32 v9, v4
	s_nop 0
	v_addc_co_u32_e32 v11, vcc, 0, v10, vcc
	v_mul_lo_u32 v10, v5, v13
	v_lshl_add_u64 v[8:9], v[8:9], 0, v[10:11]
	v_add_co_u32_e32 v1, vcc, v1, v8
	v_mul_lo_u32 v10, s2, v1
	s_nop 0
	v_addc_co_u32_e32 v5, vcc, v5, v9, vcc
	v_mul_lo_u32 v8, s2, v5
	v_mul_hi_u32 v9, s2, v1
	v_add_u32_e32 v8, v9, v8
	v_mul_lo_u32 v9, s3, v1
	v_add_u32_e32 v12, v8, v9
	v_mul_hi_u32 v14, v5, v10
	v_mul_lo_u32 v15, v5, v10
	v_mul_hi_u32 v9, v1, v12
	v_mul_lo_u32 v8, v1, v12
	v_mul_hi_u32 v10, v1, v10
	v_mov_b32_e32 v11, v4
	v_lshl_add_u64 v[8:9], v[10:11], 0, v[8:9]
	v_add_co_u32_e32 v8, vcc, v8, v15
	v_mul_hi_u32 v13, v5, v12
	s_nop 0
	v_addc_co_u32_e32 v8, vcc, v9, v14, vcc
	v_mul_lo_u32 v10, v5, v12
	s_nop 0
	v_addc_co_u32_e32 v11, vcc, 0, v13, vcc
	v_mov_b32_e32 v9, v4
	v_lshl_add_u64 v[8:9], v[8:9], 0, v[10:11]
	v_add_co_u32_e32 v1, vcc, v1, v8
	v_mul_hi_u32 v10, v6, v1
	s_nop 0
	v_addc_co_u32_e32 v5, vcc, v5, v9, vcc
	v_mad_u64_u32 v[8:9], s[2:3], v6, v5, 0
	v_mov_b32_e32 v11, v4
	v_lshl_add_u64 v[8:9], v[10:11], 0, v[8:9]
	v_mad_u64_u32 v[12:13], s[2:3], v7, v1, 0
	v_add_co_u32_e32 v1, vcc, v8, v12
	v_mad_u64_u32 v[10:11], s[2:3], v7, v5, 0
	s_nop 0
	v_addc_co_u32_e32 v8, vcc, v9, v13, vcc
	v_mov_b32_e32 v9, v4
	s_nop 0
	v_addc_co_u32_e32 v11, vcc, 0, v11, vcc
	v_lshl_add_u64 v[8:9], v[8:9], 0, v[10:11]
	v_mul_lo_u32 v1, s29, v8
	v_mul_lo_u32 v5, s28, v9
	v_mad_u64_u32 v[10:11], s[2:3], s28, v8, 0
	v_add3_u32 v1, v11, v5, v1
	v_sub_u32_e32 v5, v7, v1
	v_mov_b32_e32 v11, s29
	v_sub_co_u32_e32 v14, vcc, v6, v10
	v_lshl_add_u64 v[12:13], v[8:9], 0, 1
	s_nop 0
	v_subb_co_u32_e64 v5, s[2:3], v5, v11, vcc
	v_subrev_co_u32_e64 v10, s[2:3], s28, v14
	v_subb_co_u32_e32 v1, vcc, v7, v1, vcc
	s_nop 0
	v_subbrev_co_u32_e64 v5, s[2:3], 0, v5, s[2:3]
	v_cmp_le_u32_e64 s[2:3], s29, v5
	v_cmp_le_u32_e32 vcc, s29, v1
	s_nop 0
	v_cndmask_b32_e64 v11, 0, -1, s[2:3]
	v_cmp_le_u32_e64 s[2:3], s28, v10
	s_nop 1
	v_cndmask_b32_e64 v10, 0, -1, s[2:3]
	v_cmp_eq_u32_e64 s[2:3], s29, v5
	s_nop 1
	v_cndmask_b32_e64 v5, v11, v10, s[2:3]
	v_lshl_add_u64 v[10:11], v[8:9], 0, 2
	v_cmp_ne_u32_e64 s[2:3], 0, v5
	s_nop 1
	v_cndmask_b32_e64 v5, v13, v11, s[2:3]
	v_cndmask_b32_e64 v11, 0, -1, vcc
	v_cmp_le_u32_e32 vcc, s28, v14
	s_nop 1
	v_cndmask_b32_e64 v13, 0, -1, vcc
	v_cmp_eq_u32_e32 vcc, s29, v1
	s_nop 1
	v_cndmask_b32_e32 v1, v11, v13, vcc
	v_cmp_ne_u32_e32 vcc, 0, v1
	v_cndmask_b32_e64 v1, v12, v10, s[2:3]
	s_nop 0
	v_cndmask_b32_e32 v23, v9, v5, vcc
	v_cndmask_b32_e32 v22, v8, v1, vcc
.LBB0_4:                                ;   in Loop: Header=BB0_2 Depth=1
	s_andn2_saveexec_b64 s[2:3], s[30:31]
	s_cbranch_execz .LBB0_6
; %bb.5:                                ;   in Loop: Header=BB0_2 Depth=1
	v_cvt_f32_u32_e32 v1, s28
	s_sub_i32 s30, 0, s28
	v_mov_b32_e32 v23, v4
	v_rcp_iflag_f32_e32 v1, v1
	s_nop 0
	v_mul_f32_e32 v1, 0x4f7ffffe, v1
	v_cvt_u32_f32_e32 v1, v1
	v_mul_lo_u32 v5, s30, v1
	v_mul_hi_u32 v5, v1, v5
	v_add_u32_e32 v1, v1, v5
	v_mul_hi_u32 v1, v6, v1
	v_mul_lo_u32 v5, v1, s28
	v_sub_u32_e32 v5, v6, v5
	v_add_u32_e32 v8, 1, v1
	v_subrev_u32_e32 v9, s28, v5
	v_cmp_le_u32_e32 vcc, s28, v5
	s_nop 1
	v_cndmask_b32_e32 v5, v5, v9, vcc
	v_cndmask_b32_e32 v1, v1, v8, vcc
	v_add_u32_e32 v8, 1, v1
	v_cmp_le_u32_e32 vcc, s28, v5
	s_nop 1
	v_cndmask_b32_e32 v22, v1, v8, vcc
.LBB0_6:                                ;   in Loop: Header=BB0_2 Depth=1
	s_or_b64 exec, exec, s[2:3]
	v_mad_u64_u32 v[8:9], s[2:3], v22, s28, 0
	s_load_dwordx2 s[2:3], s[22:23], 0x0
	v_mul_lo_u32 v1, v23, s28
	v_mul_lo_u32 v5, v22, s29
	s_load_dwordx2 s[28:29], s[20:21], 0x0
	s_add_u32 s26, s26, 1
	v_add3_u32 v1, v9, v5, v1
	v_sub_co_u32_e32 v5, vcc, v6, v8
	s_addc_u32 s27, s27, 0
	s_nop 0
	v_subb_co_u32_e32 v1, vcc, v7, v1, vcc
	s_add_u32 s20, s20, 8
	s_waitcnt lgkmcnt(0)
	v_mul_lo_u32 v6, s2, v1
	v_mul_lo_u32 v7, s3, v5
	v_mad_u64_u32 v[2:3], s[2:3], s2, v5, v[2:3]
	s_addc_u32 s21, s21, 0
	v_add3_u32 v3, v7, v3, v6
	v_mul_lo_u32 v1, s28, v1
	v_mul_lo_u32 v6, s29, v5
	v_mad_u64_u32 v[20:21], s[2:3], s28, v5, v[20:21]
	s_add_u32 s22, s22, 8
	v_add3_u32 v21, v6, v21, v1
	s_addc_u32 s23, s23, 0
	v_mov_b64_e32 v[6:7], s[10:11]
	s_add_u32 s24, s24, 8
	v_cmp_ge_u64_e32 vcc, s[26:27], v[6:7]
	s_addc_u32 s25, s25, 0
	s_cbranch_vccnz .LBB0_9
; %bb.7:                                ;   in Loop: Header=BB0_2 Depth=1
	v_mov_b64_e32 v[6:7], v[22:23]
	s_branch .LBB0_2
.LBB0_8:
	v_mov_b64_e32 v[20:21], v[2:3]
	v_mov_b64_e32 v[22:23], v[6:7]
.LBB0_9:
	s_load_dwordx2 s[0:1], s[0:1], 0x28
	s_lshl_b64 s[20:21], s[10:11], 3
	s_add_u32 s10, s14, s20
	s_addc_u32 s11, s15, s21
                                        ; implicit-def: $vgpr34
                                        ; implicit-def: $vgpr30
	s_waitcnt lgkmcnt(0)
	v_cmp_gt_u64_e32 vcc, s[0:1], v[22:23]
	v_cmp_le_u64_e64 s[0:1], s[0:1], v[22:23]
	s_and_saveexec_b64 s[2:3], s[0:1]
	s_xor_b64 s[0:1], exec, s[2:3]
; %bb.10:
	s_mov_b32 s2, 0x11bb4a5
	v_mul_hi_u32 v1, v0, s2
	v_mul_u32_u24_e32 v1, 0xe7, v1
	v_sub_u32_e32 v34, v0, v1
	v_add_u32_e32 v30, 0xe7, v34
                                        ; implicit-def: $vgpr0
                                        ; implicit-def: $vgpr2_vgpr3
; %bb.11:
	s_or_saveexec_b64 s[2:3], s[0:1]
	s_load_dwordx2 s[10:11], s[10:11], 0x0
                                        ; implicit-def: $vgpr14
                                        ; implicit-def: $vgpr16
                                        ; implicit-def: $vgpr12
                                        ; implicit-def: $vgpr4
                                        ; implicit-def: $vgpr6
                                        ; implicit-def: $vgpr10
                                        ; implicit-def: $vgpr18
                                        ; implicit-def: $vgpr26
                                        ; implicit-def: $vgpr28
	s_xor_b64 exec, exec, s[2:3]
	s_cbranch_execz .LBB0_15
; %bb.12:
	s_add_u32 s0, s12, s20
	s_addc_u32 s1, s13, s21
	s_load_dwordx2 s[0:1], s[0:1], 0x0
	s_mov_b32 s12, 0x11bb4a5
	s_waitcnt lgkmcnt(0)
	v_mul_lo_u32 v1, s1, v22
	v_mul_lo_u32 v6, s0, v23
	v_mad_u64_u32 v[4:5], s[0:1], s0, v22, 0
	v_add3_u32 v5, v5, v6, v1
	v_mul_hi_u32 v1, v0, s12
	v_mul_u32_u24_e32 v1, 0xe7, v1
	v_sub_u32_e32 v34, v0, v1
	v_mad_u64_u32 v[6:7], s[0:1], s18, v34, 0
	v_mov_b32_e32 v0, v7
	v_mad_u64_u32 v[0:1], s[0:1], s19, v34, v[0:1]
	v_mov_b32_e32 v7, v0
	v_lshl_add_u64 v[0:1], v[4:5], 3, s[4:5]
	v_lshl_add_u64 v[0:1], v[2:3], 3, v[0:1]
	;; [unrolled: 1-line block ×3, first 2 shown]
	v_add_u32_e32 v7, 0x21b, v34
	v_mad_u64_u32 v[4:5], s[0:1], s18, v7, 0
	v_mov_b32_e32 v6, v5
	v_mad_u64_u32 v[6:7], s[0:1], s19, v7, v[6:7]
	v_mov_b32_e32 v5, v6
	v_add_u32_e32 v7, 0x436, v34
	v_lshl_add_u64 v[8:9], v[4:5], 3, v[0:1]
	v_mad_u64_u32 v[4:5], s[0:1], s18, v7, 0
	v_mov_b32_e32 v6, v5
	v_mad_u64_u32 v[6:7], s[0:1], s19, v7, v[6:7]
	v_mov_b32_e32 v5, v6
	v_add_u32_e32 v30, 0xe7, v34
	v_lshl_add_u64 v[12:13], v[4:5], 3, v[0:1]
	;; [unrolled: 6-line block ×4, first 2 shown]
	v_mad_u64_u32 v[4:5], s[0:1], s18, v7, 0
	v_mov_b32_e32 v6, v5
	v_mad_u64_u32 v[6:7], s[0:1], s19, v7, v[6:7]
	v_mov_b32_e32 v5, v6
	v_lshl_add_u64 v[24:25], v[4:5], 3, v[0:1]
	global_load_dwordx2 v[18:19], v[2:3], off
	global_load_dwordx2 v[26:27], v[8:9], off
	;; [unrolled: 1-line block ×6, first 2 shown]
	s_movk_i32 s0, 0x4d
	v_cmp_gt_u32_e64 s[0:1], s0, v34
                                        ; implicit-def: $vgpr13
                                        ; implicit-def: $vgpr17
                                        ; implicit-def: $vgpr15
	s_and_saveexec_b64 s[4:5], s[0:1]
	s_cbranch_execz .LBB0_14
; %bb.13:
	v_add_u32_e32 v9, 0x1ce, v34
	v_mad_u64_u32 v[2:3], s[0:1], s18, v9, 0
	v_mov_b32_e32 v8, v3
	v_mad_u64_u32 v[8:9], s[0:1], s19, v9, v[8:9]
	v_add_u32_e32 v13, 0x3e9, v34
	v_mov_b32_e32 v3, v8
	v_mad_u64_u32 v[8:9], s[0:1], s18, v13, 0
	v_mov_b32_e32 v12, v9
	v_mad_u64_u32 v[12:13], s[0:1], s19, v13, v[12:13]
	v_add_u32_e32 v15, 0x604, v34
	v_mov_b32_e32 v9, v12
	v_mad_u64_u32 v[12:13], s[0:1], s18, v15, 0
	v_mov_b32_e32 v14, v13
	v_mad_u64_u32 v[14:15], s[0:1], s19, v15, v[14:15]
	v_lshl_add_u64 v[2:3], v[2:3], 3, v[0:1]
	v_mov_b32_e32 v13, v14
	v_lshl_add_u64 v[8:9], v[8:9], 3, v[0:1]
	v_lshl_add_u64 v[0:1], v[12:13], 3, v[0:1]
	global_load_dwordx2 v[14:15], v[2:3], off
	global_load_dwordx2 v[12:13], v[8:9], off
	;; [unrolled: 1-line block ×3, first 2 shown]
.LBB0_14:
	s_or_b64 exec, exec, s[4:5]
.LBB0_15:
	s_or_b64 exec, exec, s[2:3]
	s_waitcnt vmcnt(0)
	v_pk_add_f32 v[0:1], v[16:17], v[12:13]
	v_pk_add_f32 v[2:3], v[12:13], v[16:17] neg_lo:[0,1] neg_hi:[0,1]
	s_mov_b32 s0, 0x3f5db3d7
	v_pk_fma_f32 v[0:1], v[0:1], 0.5, v[14:15] op_sel_hi:[1,0,1] neg_lo:[1,0,0] neg_hi:[1,0,0]
	v_pk_mul_f32 v[2:3], v[2:3], s[0:1] op_sel_hi:[1,0]
	v_pk_add_f32 v[32:33], v[26:27], v[28:29]
	v_pk_add_f32 v[24:25], v[0:1], v[2:3] op_sel:[0,1] op_sel_hi:[1,0]
	v_pk_add_f32 v[2:3], v[0:1], v[2:3] op_sel:[0,1] op_sel_hi:[1,0] neg_lo:[0,1] neg_hi:[0,1]
	v_pk_add_f32 v[0:1], v[18:19], v[26:27]
	v_pk_add_f32 v[26:27], v[26:27], v[28:29] neg_lo:[0,1] neg_hi:[0,1]
	v_pk_fma_f32 v[18:19], v[32:33], 0.5, v[18:19] op_sel_hi:[1,0,1] neg_lo:[1,0,0] neg_hi:[1,0,0]
	v_pk_mul_f32 v[26:27], v[26:27], s[0:1] op_sel_hi:[1,0]
	v_pk_add_f32 v[0:1], v[0:1], v[28:29]
	v_pk_add_f32 v[28:29], v[18:19], v[26:27] op_sel:[0,1] op_sel_hi:[1,0]
	v_pk_add_f32 v[18:19], v[18:19], v[26:27] op_sel:[0,1] op_sel_hi:[1,0] neg_lo:[0,1] neg_hi:[0,1]
	v_mov_b32_e32 v8, v2
	v_mad_u32_u24 v2, v34, 24, 0
	v_mov_b32_e32 v26, v28
	v_mov_b32_e32 v27, v19
	;; [unrolled: 1-line block ×3, first 2 shown]
	ds_write2_b64 v2, v[0:1], v[26:27] offset1:1
	ds_write_b64 v2, v[18:19] offset:16
	v_pk_add_f32 v[18:19], v[4:5], v[6:7]
	v_pk_add_f32 v[26:27], v[6:7], v[10:11]
	v_pk_add_f32 v[6:7], v[6:7], v[10:11] neg_lo:[0,1] neg_hi:[0,1]
	v_pk_fma_f32 v[4:5], v[26:27], 0.5, v[4:5] op_sel_hi:[1,0,1] neg_lo:[1,0,0] neg_hi:[1,0,0]
	v_pk_mul_f32 v[6:7], v[6:7], s[0:1] op_sel_hi:[1,0]
	v_pk_add_f32 v[18:19], v[18:19], v[10:11]
	v_pk_add_f32 v[10:11], v[4:5], v[6:7] op_sel:[0,1] op_sel_hi:[1,0]
	v_pk_add_f32 v[4:5], v[4:5], v[6:7] op_sel:[0,1] op_sel_hi:[1,0] neg_lo:[0,1] neg_hi:[0,1]
	s_movk_i32 s0, 0x4d
	v_mov_b32_e32 v9, v25
	v_mad_i32_i24 v0, v30, 24, 0
	v_mov_b32_e32 v6, v10
	v_mov_b32_e32 v7, v5
	;; [unrolled: 1-line block ×3, first 2 shown]
	v_cmp_gt_u32_e64 s[0:1], s0, v34
	ds_write2_b64 v0, v[18:19], v[6:7] offset1:1
	ds_write_b64 v0, v[4:5] offset:16
	s_and_saveexec_b64 s[2:3], s[0:1]
	s_cbranch_execz .LBB0_17
; %bb.16:
	v_pk_add_f32 v[4:5], v[12:13], v[14:15]
	v_add_u32_e32 v1, 0x2b50, v2
	v_pk_add_f32 v[4:5], v[16:17], v[4:5]
	v_mov_b32_e32 v25, v3
	ds_write2_b64 v1, v[4:5], v[24:25] offset1:1
	ds_write_b64 v2, v[8:9] offset:11104
.LBB0_17:
	s_or_b64 exec, exec, s[2:3]
	s_movk_i32 s0, 0xab
	v_mul_lo_u16_sdwa v1, v34, s0 dst_sel:DWORD dst_unused:UNUSED_PAD src0_sel:BYTE_0 src1_sel:DWORD
	v_lshrrev_b16_e32 v11, 9, v1
	v_mul_lo_u16_e32 v1, 3, v11
	v_sub_u16_e32 v25, v34, v1
	v_mov_b32_e32 v35, 6
	v_mul_u32_u24_sdwa v1, v25, v35 dst_sel:DWORD dst_unused:UNUSED_PAD src0_sel:BYTE_0 src1_sel:DWORD
	v_lshlrev_b32_e32 v1, 3, v1
	s_waitcnt lgkmcnt(0)
	s_barrier
	global_load_dwordx4 v[4:7], v1, s[8:9]
	global_load_dwordx4 v[12:15], v1, s[8:9] offset:16
	global_load_dwordx4 v[16:19], v1, s[8:9] offset:32
	v_lshlrev_b32_e32 v10, 4, v34
	v_lshlrev_b32_e32 v1, 4, v30
	v_sub_u32_e32 v59, v2, v10
	v_sub_u32_e32 v60, v0, v1
	ds_read_b64 v[0:1], v59
	v_add_u32_e32 v61, 0xe00, v59
	v_add_u32_e32 v62, 0x1c80, v59
	ds_read_b64 v[36:37], v60
	ds_read_b64 v[38:39], v59 offset:11088
	ds_read2_b64 v[26:29], v61 offset0:14 offset1:245
	ds_read2_b64 v[30:33], v62 offset0:12 offset1:243
	v_mov_b32_e32 v58, 3
	v_mul_u32_u24_e32 v11, 0xa8, v11
	v_lshlrev_b32_sdwa v25, v58, v25 dst_sel:DWORD dst_unused:UNUSED_PAD src0_sel:DWORD src1_sel:BYTE_0
	v_add3_u32 v11, 0, v11, v25
	s_waitcnt lgkmcnt(3)
	v_mov_b32_e32 v40, v37
	s_waitcnt lgkmcnt(2)
	v_mov_b32_e32 v42, v39
	;; [unrolled: 2-line block ×4, first 2 shown]
	v_mov_b32_e32 v46, v27
	v_mov_b32_e32 v48, v32
	;; [unrolled: 1-line block ×6, first 2 shown]
	s_mov_b32 s0, 0x3eae86e6
	s_mov_b32 s1, 0xbf08b237
	;; [unrolled: 1-line block ×6, first 2 shown]
	s_barrier
	s_waitcnt vmcnt(2)
	v_pk_mul_f32 v[52:53], v[4:5], v[36:37] op_sel_hi:[1,0]
	v_mul_f32_e32 v25, v7, v27
	s_waitcnt vmcnt(1)
	v_mul_f32_e32 v27, v12, v29
	v_fma_f32 v26, v6, v26, -v25
	v_mov_b32_e32 v56, v7
	v_mov_b32_e32 v57, v15
	s_waitcnt vmcnt(0)
	v_mul_f32_e32 v25, v17, v33
	v_mov_b32_e32 v33, v12
	v_mov_b32_e32 v12, v17
	v_pk_fma_f32 v[40:41], v[4:5], v[40:41], v[52:53] op_sel:[0,0,1] op_sel_hi:[1,1,0]
	v_pk_fma_f32 v[4:5], v[4:5], v[36:37], v[52:53] op_sel:[0,1,1] op_sel_hi:[1,1,0] neg_lo:[1,0,0] neg_hi:[1,0,0]
	v_pk_mul_f32 v[36:37], v[18:19], v[38:39] op_sel_hi:[1,0]
	v_mul_f32_e32 v29, v13, v28
	v_mov_b32_e32 v54, v6
	v_mov_b32_e32 v55, v14
	v_fma_f32 v28, v16, v32, -v25
	v_mov_b32_e32 v32, v16
	v_pk_mul_f32 v[44:45], v[56:57], v[44:45]
	v_pk_mul_f32 v[12:13], v[12:13], v[48:49]
	v_pk_fma_f32 v[42:43], v[18:19], v[42:43], v[36:37] op_sel:[0,0,1] op_sel_hi:[1,1,0]
	v_pk_fma_f32 v[18:19], v[18:19], v[38:39], v[36:37] op_sel:[0,1,1] op_sel_hi:[1,1,0] neg_lo:[1,0,0] neg_hi:[1,0,0]
	v_mul_f32_e32 v31, v14, v31
	v_mul_f32_e32 v15, v15, v30
	v_pk_fma_f32 v[6:7], v[6:7], v[46:47], v[44:45]
	v_pk_fma_f32 v[36:37], v[54:55], v[46:47], v[44:45] neg_lo:[0,0,1] neg_hi:[0,0,1]
	v_pk_fma_f32 v[16:17], v[16:17], v[50:51], v[12:13]
	v_pk_fma_f32 v[12:13], v[32:33], v[50:51], v[12:13] neg_lo:[0,0,1] neg_hi:[0,0,1]
	v_mov_b32_e32 v30, v5
	v_mov_b32_e32 v14, v19
	;; [unrolled: 1-line block ×4, first 2 shown]
	v_pk_add_f32 v[4:5], v[26:27], v[28:29]
	v_mov_b32_e32 v7, v37
	v_mov_b32_e32 v17, v13
	v_pk_add_f32 v[14:15], v[30:31], v[14:15]
	v_mov_b32_e32 v19, v26
	v_mov_b32_e32 v27, v28
	v_pk_add_f32 v[28:29], v[40:41], v[42:43]
	v_mov_b32_e32 v26, v5
	v_pk_add_f32 v[30:31], v[6:7], v[16:17]
	v_mov_b32_e32 v18, v15
	v_pk_add_f32 v[32:33], v[40:41], v[42:43] neg_lo:[0,1] neg_hi:[0,1]
	v_pk_add_f32 v[18:19], v[18:19], v[26:27] neg_lo:[0,1] neg_hi:[0,1]
	v_mov_b32_e32 v12, v13
	v_mov_b32_e32 v13, v30
	;; [unrolled: 1-line block ×4, first 2 shown]
	v_pk_add_f32 v[6:7], v[6:7], v[16:17] neg_lo:[0,1] neg_hi:[0,1]
	v_mov_b32_e32 v39, v33
	v_mov_b32_e32 v38, v18
	v_pk_add_f32 v[42:43], v[4:5], v[14:15]
	v_pk_add_f32 v[12:13], v[12:13], v[36:37]
	v_pk_add_f32 v[38:39], v[38:39], v[6:7] neg_lo:[0,1] neg_hi:[0,1]
	v_mov_b32_e32 v36, v12
	v_mov_b32_e32 v5, v43
	;; [unrolled: 1-line block ×4, first 2 shown]
	v_pk_mul_f32 v[38:39], v[38:39], s[2:3]
	v_pk_add_f32 v[36:37], v[36:37], v[4:5] neg_lo:[0,1] neg_hi:[0,1]
	v_mov_b32_e32 v15, v43
	v_mov_b32_e32 v44, v12
	;; [unrolled: 1-line block ×3, first 2 shown]
	v_pk_add_f32 v[12:13], v[42:43], v[12:13]
	s_mov_b32 s3, 0x3f4a47b2
	s_mov_b32 s2, 0x3d64c772
	v_pk_add_f32 v[16:17], v[16:17], v[18:19] neg_lo:[0,1] neg_hi:[0,1]
	v_pk_add_f32 v[26:27], v[6:7], v[18:19]
	v_pk_add_f32 v[44:45], v[14:15], v[44:45] neg_lo:[0,1] neg_hi:[0,1]
	v_pk_add_f32 v[0:1], v[12:13], v[0:1]
	v_pk_mul_f32 v[36:37], v[36:37], s[2:3]
	s_mov_b32 s12, s3
	s_mov_b32 s13, s2
	v_pk_mul_f32 v[40:41], v[16:17], s[0:1]
	v_pk_add_f32 v[26:27], v[26:27], v[32:33]
	v_pk_mul_f32 v[42:43], v[44:45], s[12:13]
	v_pk_fma_f32 v[12:13], v[12:13], s[4:5], v[0:1] op_sel_hi:[1,0,1]
	v_pk_fma_f32 v[44:45], v[44:45], s[12:13], v[36:37]
	v_pk_fma_f32 v[16:17], v[16:17], s[0:1], v[38:39]
	v_pk_add_f32 v[44:45], v[44:45], v[12:13]
	v_pk_fma_f32 v[16:17], v[26:27], s[14:15], v[16:17] op_sel_hi:[1,0,1]
	v_mov_b32_e32 v7, v19
	v_pk_add_f32 v[46:47], v[44:45], v[16:17]
	v_pk_add_f32 v[16:17], v[44:45], v[16:17] neg_lo:[0,1] neg_hi:[0,1]
	v_mov_b32_e32 v44, v46
	v_mov_b32_e32 v45, v17
	;; [unrolled: 1-line block ×4, first 2 shown]
	ds_write2_b64 v11, v[0:1], v[44:45] offset1:3
	v_pk_add_f32 v[0:1], v[6:7], v[32:33] neg_lo:[0,1] neg_hi:[0,1]
	s_mov_b32 s4, 0x3f5ff5aa
	v_pk_add_f32 v[4:5], v[4:5], v[14:15] neg_lo:[0,1] neg_hi:[0,1]
	s_mov_b32 s12, 0x3f3bfb3b
	v_mov_b32_e32 v6, v42
	v_mov_b32_e32 v7, v37
	;; [unrolled: 1-line block ×6, first 2 shown]
	v_pk_fma_f32 v[6:7], v[4:5], s[12:13], v[6:7] op_sel_hi:[1,0,1] neg_lo:[1,0,1] neg_hi:[1,0,1]
	v_pk_fma_f32 v[14:15], v[0:1], s[4:5], v[14:15] op_sel_hi:[1,0,1] neg_lo:[1,0,1] neg_hi:[1,0,1]
	;; [unrolled: 1-line block ×4, first 2 shown]
	v_pk_add_f32 v[6:7], v[6:7], v[12:13]
	v_pk_fma_f32 v[14:15], v[26:27], s[14:15], v[14:15] op_sel_hi:[1,0,1]
	v_pk_add_f32 v[4:5], v[4:5], v[12:13]
	v_pk_fma_f32 v[0:1], v[26:27], s[14:15], v[0:1] op_sel_hi:[1,0,1]
	v_pk_add_f32 v[18:19], v[6:7], v[14:15]
	v_pk_add_f32 v[6:7], v[6:7], v[14:15] neg_lo:[0,1] neg_hi:[0,1]
	v_pk_add_f32 v[12:13], v[4:5], v[0:1] neg_lo:[0,1] neg_hi:[0,1]
	v_pk_add_f32 v[0:1], v[4:5], v[0:1]
	v_mov_b32_e32 v15, v7
	v_mov_b32_e32 v5, v1
	;; [unrolled: 1-line block ×4, first 2 shown]
	s_movk_i32 s5, 0x87
	ds_write2_b64 v11, v[0:1], v[6:7] offset0:12 offset1:15
	v_mul_lo_u16_sdwa v0, v34, s5 dst_sel:DWORD dst_unused:UNUSED_PAD src0_sel:BYTE_0 src1_sel:DWORD
	v_sub_u16_sdwa v1, v34, v0 dst_sel:DWORD dst_unused:UNUSED_PAD src0_sel:DWORD src1_sel:BYTE_1
	v_lshrrev_b16_e32 v1, 1, v1
	v_and_b32_e32 v1, 0x7f, v1
	v_add_u16_sdwa v0, v1, v0 dst_sel:DWORD dst_unused:UNUSED_PAD src0_sel:DWORD src1_sel:BYTE_1
	v_mov_b32_e32 v14, v18
	v_mov_b32_e32 v4, v12
	;; [unrolled: 1-line block ×3, first 2 shown]
	v_lshrrev_b16_e32 v0, 4, v0
	ds_write2_b64 v11, v[14:15], v[4:5] offset0:6 offset1:9
	ds_write_b64 v11, v[16:17] offset:144
	v_and_b32_e32 v11, 15, v0
	v_mul_lo_u16_e32 v0, 21, v11
	v_sub_u16_e32 v25, v34, v0
	v_mul_u32_u24_sdwa v0, v25, v35 dst_sel:DWORD dst_unused:UNUSED_PAD src0_sel:BYTE_0 src1_sel:DWORD
	v_lshlrev_b32_e32 v0, 3, v0
	s_waitcnt lgkmcnt(0)
	s_barrier
	global_load_dwordx4 v[4:7], v0, s[8:9] offset:144
	global_load_dwordx4 v[12:15], v0, s[8:9] offset:160
	;; [unrolled: 1-line block ×3, first 2 shown]
	ds_read_b64 v[0:1], v60
	ds_read_b64 v[36:37], v59
	ds_read2_b64 v[26:29], v61 offset0:14 offset1:245
	ds_read2_b64 v[30:33], v62 offset0:12 offset1:243
	ds_read_b64 v[38:39], v59 offset:11088
	s_mov_b32 s5, 0xbf3bfb3b
	s_mov_b32 s13, s0
	s_movk_i32 s0, 0x498
	s_waitcnt lgkmcnt(0)
	s_barrier
	s_waitcnt vmcnt(2)
	v_mul_f32_e32 v35, v5, v1
	v_fma_f32 v40, v4, v0, -v35
	v_mul_f32_e32 v35, v5, v0
	v_fmac_f32_e32 v35, v4, v1
	v_mul_f32_e32 v0, v7, v27
	s_waitcnt vmcnt(1)
	v_mul_f32_e32 v4, v15, v31
	v_fma_f32 v0, v6, v26, -v0
	v_mul_f32_e32 v5, v7, v26
	v_mul_f32_e32 v1, v13, v29
	v_fma_f32 v26, v14, v30, -v4
	s_waitcnt vmcnt(0)
	v_mul_f32_e32 v4, v17, v33
	v_fmac_f32_e32 v5, v6, v27
	v_fma_f32 v6, v12, v28, -v1
	v_mul_f32_e32 v1, v12, v29
	v_fma_f32 v12, v16, v32, -v4
	v_mul_f32_e32 v4, v19, v39
	v_mul_f32_e32 v41, v14, v31
	v_fma_f32 v14, v18, v38, -v4
	v_mul_f32_e32 v4, v19, v38
	v_fmac_f32_e32 v4, v18, v39
	v_mul_f32_e32 v13, v13, v28
	v_mul_f32_e32 v15, v15, v30
	;; [unrolled: 1-line block ×3, first 2 shown]
	v_add_f32_e32 v27, v35, v4
	v_sub_f32_e32 v18, v35, v4
	v_sub_f32_e32 v4, v0, v12
	;; [unrolled: 1-line block ×3, first 2 shown]
	v_fmac_f32_e32 v17, v16, v33
	v_sub_f32_e32 v16, v40, v14
	v_add_f32_e32 v29, v19, v4
	v_pk_add_f32 v[14:15], v[40:41], v[14:15]
	v_pk_add_f32 v[0:1], v[0:1], v[12:13]
	v_add_f32_e32 v7, v5, v17
	v_sub_f32_e32 v30, v19, v4
	v_sub_f32_e32 v32, v16, v19
	;; [unrolled: 1-line block ×3, first 2 shown]
	v_add_f32_e32 v35, v29, v16
	v_mov_b32_e32 v4, v15
	v_mov_b32_e32 v16, v1
	v_pk_add_f32 v[12:13], v[4:5], v[16:17] neg_lo:[0,1] neg_hi:[0,1]
	v_pk_add_f32 v[4:5], v[0:1], v[14:15]
	v_pk_add_f32 v[16:17], v[6:7], v[26:27]
	v_sub_f32_e32 v28, v7, v27
	v_sub_f32_e32 v15, v27, v5
	;; [unrolled: 1-line block ×3, first 2 shown]
	v_add_f32_e32 v19, v12, v13
	v_pk_add_f32 v[6:7], v[4:5], v[16:17]
	v_sub_f32_e32 v1, v0, v14
	v_add_f32_e32 v17, v19, v18
	v_pk_add_f32 v[4:5], v[6:7], v[36:37]
	v_mul_f32_e32 v15, 0x3f4a47b2, v15
	v_mul_f32_e32 v36, 0x3d64c772, v26
	;; [unrolled: 1-line block ×6, first 2 shown]
	v_fmamk_f32 v7, v7, 0xbf955555, v5
	v_fma_f32 v17, v28, s12, -v36
	v_fma_f32 v28, v28, s5, -v15
	s_mov_b32 s5, 0xbeae86e6
	v_fmac_f32_e32 v15, 0x3d64c772, v26
	v_fma_f32 v37, v32, s5, -v1
	v_add_f32_e32 v41, v17, v7
	v_mov_b32_e32 v17, v12
	v_mov_b32_e32 v1, v13
	v_add_f32_e32 v39, v15, v7
	v_pk_add_f32 v[0:1], v[16:17], v[0:1] neg_lo:[0,1] neg_hi:[0,1]
	v_mov_b32_e32 v15, v18
	s_mov_b32 s12, s3
	s_mov_b32 s3, s1
	v_sub_f32_e32 v38, v13, v18
	v_pk_add_f32 v[12:13], v[14:15], v[16:17] neg_lo:[0,1] neg_hi:[0,1]
	v_pk_mul_f32 v[14:15], v[0:1], s[2:3]
	v_add_f32_e32 v43, v28, v7
	v_mov_b32_e32 v7, v4
	v_mov_b32_e32 v18, v14
	v_pk_mul_f32 v[12:13], v[12:13], s[12:13]
	v_pk_add_f32 v[16:17], v[6:7], v[18:19] neg_lo:[0,1] neg_hi:[0,1]
	v_mul_f32_e32 v29, 0xbf08b237, v30
	v_mul_f32_e32 v31, 0x3f5ff5aa, v38
	v_pk_fma_f32 v[0:1], v[0:1], s[2:3], v[12:13]
	v_mov_b32_e32 v26, v17
	v_mov_b32_e32 v30, v12
	;; [unrolled: 1-line block ×3, first 2 shown]
	v_fma_f32 v15, v38, s4, -v15
	v_pk_add_f32 v[44:45], v[0:1], v[26:27]
	v_mov_b32_e32 v17, v27
	v_mov_b32_e32 v14, v26
	v_pk_add_f32 v[0:1], v[30:31], v[6:7] neg_lo:[1,1] neg_hi:[1,1]
	v_fma_f32 v33, v33, s4, -v29
	v_fmac_f32_e32 v29, 0x3eae86e6, v32
	v_pk_add_f32 v[18:19], v[16:17], v[14:15]
	v_pk_add_f32 v[26:27], v[0:1], v[26:27]
	v_fmac_f32_e32 v29, 0x3ee1c552, v35
	v_fmac_f32_e32 v33, 0x3ee1c552, v35
	;; [unrolled: 1-line block ×3, first 2 shown]
	v_mul_u32_u24_sdwa v0, v11, s0 dst_sel:DWORD dst_unused:UNUSED_PAD src0_sel:WORD_0 src1_sel:DWORD
	v_lshlrev_b32_sdwa v1, v58, v25 dst_sel:DWORD dst_unused:UNUSED_PAD src0_sel:DWORD src1_sel:BYTE_0
	v_mov_b32_e32 v38, v45
	v_mov_b32_e32 v28, v44
	;; [unrolled: 1-line block ×6, first 2 shown]
	v_add3_u32 v11, 0, v0, v1
	v_pk_add_f32 v[0:1], v[38:39], v[28:29]
	v_pk_add_f32 v[6:7], v[38:39], v[28:29] neg_lo:[0,1] neg_hi:[0,1]
	v_pk_add_f32 v[14:15], v[42:43], v[36:37]
	v_pk_add_f32 v[16:17], v[42:43], v[36:37] neg_lo:[0,1] neg_hi:[0,1]
	v_pk_add_f32 v[18:19], v[18:19], v[40:41] neg_lo:[0,1] neg_hi:[0,1]
	v_pk_add_f32 v[30:31], v[32:33], v[40:41]
	v_pk_add_f32 v[12:13], v[40:41], v[32:33] neg_lo:[0,1] neg_hi:[0,1]
	v_pk_add_f32 v[26:27], v[26:27], v[42:43] neg_lo:[0,1] neg_hi:[0,1]
	;; [unrolled: 1-line block ×3, first 2 shown]
	s_movk_i32 s4, 0x93
	v_mov_b32_e32 v6, v0
	v_mov_b32_e32 v16, v14
	v_mov_b32_e32 v19, v31
	v_mov_b32_e32 v12, v30
	v_mov_b32_e32 v27, v15
	v_mov_b32_e32 v29, v1
	v_cmp_gt_u32_e64 s[0:1], s4, v34
	ds_write2_b64 v11, v[4:5], v[6:7] offset1:21
	ds_write2_b64 v11, v[16:17], v[18:19] offset0:42 offset1:63
	ds_write2_b64 v11, v[12:13], v[26:27] offset0:84 offset1:105
	ds_write_b64 v11, v[28:29] offset:1008
	s_waitcnt lgkmcnt(0)
	s_barrier
	s_waitcnt lgkmcnt(0)
                                        ; implicit-def: $vgpr32
	s_and_saveexec_b64 s[2:3], s[0:1]
	s_cbranch_execz .LBB0_19
; %bb.18:
	v_sub_u32_e32 v0, 0, v10
	v_add_u32_e32 v24, v2, v0
	v_add_u32_e32 v0, 0x800, v24
	ds_read2_b64 v[16:19], v0 offset0:38 offset1:185
	v_add_u32_e32 v8, 0x1000, v24
	v_add_u32_e32 v0, 0x1a00, v24
	ds_read2_b64 v[4:7], v24 offset1:147
	ds_read2_b64 v[0:3], v0 offset0:50 offset1:197
	ds_read2_b64 v[12:15], v8 offset0:76 offset1:223
	v_add_u32_e32 v8, 0x2400, v24
	ds_read2_b64 v[8:11], v8 offset0:24 offset1:171
	ds_read_b64 v[32:33], v24 offset:11760
	s_waitcnt lgkmcnt(5)
	v_mov_b32_e32 v31, v19
	s_waitcnt lgkmcnt(3)
	v_mov_b32_e32 v24, v2
	v_mov_b32_e32 v28, v0
	s_waitcnt lgkmcnt(2)
	v_mov_b32_e32 v26, v14
	v_mov_b32_e32 v30, v12
	v_mov_b32_e32 v14, v16
	v_mov_b32_e32 v0, v6
.LBB0_19:
	s_or_b64 exec, exec, s[2:3]
	v_cmp_gt_u32_e64 s[2:3], s4, v34
	s_and_b64 s[2:3], vcc, s[2:3]
	s_and_saveexec_b64 s[4:5], s[2:3]
	s_cbranch_execz .LBB0_21
; %bb.20:
	v_add_u32_e32 v2, 0xffffff6d, v34
	v_cndmask_b32_e64 v2, v2, v34, s[0:1]
	v_mul_i32_i24_e32 v36, 10, v2
	v_mov_b32_e32 v37, 0
	v_lshl_add_u64 v[48:49], v[36:37], 3, s[8:9]
	global_load_dwordx4 v[36:39], v[48:49], off offset:1216
	global_load_dwordx4 v[40:43], v[48:49], off offset:1200
	;; [unrolled: 1-line block ×3, first 2 shown]
	s_waitcnt lgkmcnt(0)
	v_mov_b32_e32 v2, v33
	v_mov_b32_e32 v6, v11
	;; [unrolled: 1-line block ×3, first 2 shown]
	s_mov_b32 s2, 0x3f575c64
	s_mov_b32 s18, 0xbf68dda4
	s_mov_b32 s4, 0xbe11bafb
	s_mov_b32 s12, 0xbf4178ce
	s_mov_b32 s8, 0xbf27a4f4
	s_mov_b32 s14, 0xbf75a155
	s_mov_b32 s22, 0x3e903f40
	s_mov_b32 s20, 0x3f7d64f0
	s_waitcnt vmcnt(2)
	v_pk_mul_f32 v[50:51], v[2:3], v[38:39] op_sel_hi:[0,1]
	v_pk_mul_f32 v[52:53], v[6:7], v[36:37] op_sel_hi:[0,1]
	v_pk_fma_f32 v[54:55], v[32:33], v[38:39], v[50:51] op_sel:[0,0,1] op_sel_hi:[1,1,0] neg_lo:[0,0,1] neg_hi:[0,0,1]
	v_pk_fma_f32 v[32:33], v[32:33], v[38:39], v[50:51] op_sel:[0,0,1] op_sel_hi:[0,1,0]
	v_pk_fma_f32 v[50:51], v[10:11], v[36:37], v[52:53] op_sel:[0,0,1] op_sel_hi:[1,1,0] neg_lo:[0,0,1] neg_hi:[0,0,1]
	v_pk_fma_f32 v[52:53], v[10:11], v[36:37], v[52:53] op_sel:[0,0,1] op_sel_hi:[0,1,0]
	s_waitcnt vmcnt(1)
	v_pk_mul_f32 v[10:11], v[12:13], v[42:43] op_sel_hi:[0,1]
	v_pk_fma_f32 v[56:57], v[8:9], v[42:43], v[10:11] op_sel:[0,0,1] op_sel_hi:[1,1,0] neg_lo:[0,0,1] neg_hi:[0,0,1]
	v_pk_fma_f32 v[42:43], v[8:9], v[42:43], v[10:11] op_sel:[0,0,1] op_sel_hi:[0,1,0]
	global_load_dwordx4 v[8:11], v[48:49], off offset:1152
	global_load_dwordx4 v[36:39], v[48:49], off offset:1184
	v_mov_b32_e32 v2, v3
	v_pk_mul_f32 v[2:3], v[2:3], v[40:41] op_sel_hi:[0,1]
	v_pk_fma_f32 v[58:59], v[24:25], v[40:41], v[2:3] op_sel:[0,0,1] op_sel_hi:[1,1,0] neg_lo:[0,0,1] neg_hi:[0,0,1]
	v_pk_fma_f32 v[24:25], v[24:25], v[40:41], v[2:3] op_sel:[0,0,1] op_sel_hi:[0,1,0]
	v_mov_b32_e32 v2, v13
	s_waitcnt vmcnt(2)
	v_pk_mul_f32 v[2:3], v[2:3], v[46:47] op_sel_hi:[0,1]
	v_pk_fma_f32 v[40:41], v[30:31], v[46:47], v[2:3] op_sel:[0,0,1] op_sel_hi:[1,1,0] neg_lo:[0,0,1] neg_hi:[0,0,1]
	v_pk_fma_f32 v[46:47], v[30:31], v[46:47], v[2:3] op_sel:[0,0,1] op_sel_hi:[0,1,0]
	v_mov_b32_e32 v2, v31
	v_pk_mul_f32 v[2:3], v[2:3], v[44:45] op_sel_hi:[0,1]
	v_pk_fma_f32 v[30:31], v[18:19], v[44:45], v[2:3] op_sel:[0,0,1] op_sel_hi:[1,1,0] neg_lo:[0,0,1] neg_hi:[0,0,1]
	v_pk_fma_f32 v[44:45], v[18:19], v[44:45], v[2:3] op_sel:[0,0,1] op_sel_hi:[0,1,0]
	v_mov_b32_e32 v2, v7
	v_mov_b32_e32 v6, v17
	;; [unrolled: 1-line block ×8, first 2 shown]
	v_pk_add_f32 v[46:47], v[30:31], v[56:57] neg_lo:[0,1] neg_hi:[0,1]
	v_pk_add_f32 v[44:45], v[40:41], v[58:59] neg_lo:[0,1] neg_hi:[0,1]
	s_waitcnt vmcnt(1)
	v_pk_mul_f32 v[2:3], v[2:3], v[8:9] op_sel_hi:[0,1]
	v_pk_mul_f32 v[6:7], v[6:7], v[10:11] op_sel_hi:[0,1]
	v_pk_fma_f32 v[48:49], v[0:1], v[8:9], v[2:3] op_sel:[0,0,1] op_sel_hi:[1,1,0] neg_lo:[0,0,1] neg_hi:[0,0,1]
	v_pk_fma_f32 v[16:17], v[0:1], v[8:9], v[2:3] op_sel:[0,0,1] op_sel_hi:[0,1,0]
	v_mov_b32_e32 v0, v1
	v_pk_fma_f32 v[60:61], v[14:15], v[10:11], v[6:7] op_sel:[0,0,1] op_sel_hi:[1,1,0] neg_lo:[0,0,1] neg_hi:[0,0,1]
	v_pk_fma_f32 v[18:19], v[14:15], v[10:11], v[6:7] op_sel:[0,0,1] op_sel_hi:[0,1,0]
	v_mul_lo_u32 v9, s11, v22
	v_mul_lo_u32 v10, s10, v23
	v_mad_u64_u32 v[2:3], s[0:1], s10, v22, 0
	v_mad_u64_u32 v[6:7], s[0:1], s16, v34, 0
	v_mov_b32_e32 v8, v15
	s_waitcnt vmcnt(0)
	v_pk_mul_f32 v[0:1], v[0:1], v[38:39] op_sel_hi:[0,1]
	v_add_u32_e32 v14, 0x93, v34
	v_add_u32_e32 v15, 0x126, v34
	v_add3_u32 v3, v3, v10, v9
	v_pk_mul_f32 v[8:9], v[8:9], v[36:37] op_sel_hi:[0,1]
	v_pk_fma_f32 v[62:63], v[28:29], v[38:39], v[0:1] op_sel:[0,0,1] op_sel_hi:[1,1,0] neg_lo:[0,0,1] neg_hi:[0,0,1]
	v_pk_fma_f32 v[28:29], v[28:29], v[38:39], v[0:1] op_sel:[0,0,1] op_sel_hi:[0,1,0]
	v_mov_b32_e32 v0, v7
	v_pk_fma_f32 v[38:39], v[26:27], v[36:37], v[8:9] op_sel:[0,0,1] op_sel_hi:[1,1,0] neg_lo:[0,0,1] neg_hi:[0,0,1]
	v_pk_fma_f32 v[26:27], v[26:27], v[36:37], v[8:9] op_sel:[0,0,1] op_sel_hi:[0,1,0]
	v_mad_u64_u32 v[8:9], s[0:1], s16, v14, 0
	v_mad_u64_u32 v[10:11], s[0:1], s16, v15, 0
	;; [unrolled: 1-line block ×3, first 2 shown]
	v_lshl_add_u64 v[2:3], v[2:3], 3, s[6:7]
	v_add_u32_e32 v16, 0x1b9, v34
	v_mov_b32_e32 v7, v0
	v_mov_b32_e32 v0, v9
	v_lshl_add_u64 v[12:13], v[20:21], 3, v[2:3]
	v_mov_b32_e32 v2, v11
	v_mad_u64_u32 v[0:1], s[0:1], s17, v14, v[0:1]
	v_mad_u64_u32 v[2:3], s[0:1], s17, v15, v[2:3]
	;; [unrolled: 1-line block ×3, first 2 shown]
	v_mov_b32_e32 v9, v0
	v_mov_b32_e32 v0, v15
	v_mad_u64_u32 v[0:1], s[0:1], s17, v16, v[0:1]
	v_add_u32_e32 v3, 0x24c, v34
	v_mov_b32_e32 v15, v0
	v_mad_u64_u32 v[0:1], s[0:1], s16, v3, 0
	v_mov_b32_e32 v11, v2
	v_mov_b32_e32 v2, v1
	v_mad_u64_u32 v[2:3], s[0:1], s17, v3, v[2:3]
	v_add_u32_e32 v18, 0x2df, v34
	v_mov_b32_e32 v1, v2
	v_mad_u64_u32 v[2:3], s[0:1], s16, v18, 0
	v_mov_b32_e32 v16, v3
	v_mad_u64_u32 v[20:21], s[0:1], s17, v18, v[16:17]
	v_add_u32_e32 v18, 0x372, v34
	v_mov_b32_e32 v3, v20
	v_mad_u64_u32 v[20:21], s[0:1], s16, v18, 0
	v_mov_b32_e32 v16, v21
	v_mad_u64_u32 v[22:23], s[0:1], s17, v18, v[16:17]
	v_add_u32_e32 v18, 0x405, v34
	v_mov_b32_e32 v21, v22
	v_mad_u64_u32 v[22:23], s[0:1], s16, v18, 0
	v_mov_b32_e32 v16, v23
	v_mad_u64_u32 v[36:37], s[0:1], s17, v18, v[16:17]
	v_add_u32_e32 v18, 0x498, v34
	v_mov_b32_e32 v23, v36
	v_mad_u64_u32 v[36:37], s[0:1], s16, v18, 0
	v_mov_b32_e32 v16, v37
	v_mad_u64_u32 v[64:65], s[0:1], s17, v18, v[16:17]
	v_add_u32_e32 v18, 0x52b, v34
	v_mov_b32_e32 v37, v64
	v_mad_u64_u32 v[64:65], s[0:1], s16, v18, 0
	v_mov_b32_e32 v16, v65
	v_mad_u64_u32 v[66:67], s[0:1], s17, v18, v[16:17]
	v_add_u32_e32 v18, 0x5be, v34
	v_mad_u64_u32 v[34:35], s[0:1], s16, v18, 0
	v_mov_b32_e32 v16, v35
	v_mov_b32_e32 v49, v17
	;; [unrolled: 1-line block ×3, first 2 shown]
	v_mad_u64_u32 v[66:67], s[0:1], s17, v18, v[16:17]
	v_lshl_add_u64 v[72:73], v[14:15], 3, v[12:13]
	v_lshl_add_u64 v[14:15], v[0:1], 3, v[12:13]
	;; [unrolled: 1-line block ×4, first 2 shown]
	v_mov_b32_e32 v61, v19
	v_pk_add_f32 v[20:21], v[48:49], v[54:55] neg_lo:[0,1] neg_hi:[0,1]
	s_mov_b32 s6, 0xbf0a6770
	v_mov_b32_e32 v35, v66
	v_lshl_add_u64 v[66:67], v[6:7], 3, v[12:13]
	v_lshl_add_u64 v[6:7], v[22:23], 3, v[12:13]
	v_pk_add_f32 v[18:19], v[48:49], v[54:55]
	v_pk_add_f32 v[22:23], v[60:61], v[50:51] neg_lo:[0,1] neg_hi:[0,1]
	v_pk_mul_f32 v[24:25], v[20:21], s[6:7] op_sel:[1,0] op_sel_hi:[0,0]
	v_pk_add_f32 v[16:17], v[60:61], v[50:51]
	v_mov_b32_e32 v39, v27
	s_mov_b32 s0, 0x3ed4b147
	v_pk_fma_f32 v[26:27], v[18:19], s[2:3], v[24:25] op_sel_hi:[1,0,1]
	v_pk_fma_f32 v[24:25], v[18:19], s[2:3], v[24:25] op_sel_hi:[1,0,1] neg_lo:[0,0,1] neg_hi:[0,0,1]
	v_pk_mul_f32 v[32:33], v[22:23], s[18:19] op_sel:[1,0] op_sel_hi:[0,0]
	v_lshl_add_u64 v[68:69], v[8:9], 3, v[12:13]
	v_lshl_add_u64 v[70:71], v[10:11], 3, v[12:13]
	;; [unrolled: 1-line block ×5, first 2 shown]
	v_mov_b32_e32 v63, v29
	v_mov_b32_e32 v28, v26
	v_mov_b32_e32 v29, v25
	v_pk_fma_f32 v[34:35], v[16:17], s[0:1], v[32:33] op_sel_hi:[1,0,1]
	v_pk_fma_f32 v[32:33], v[16:17], s[0:1], v[32:33] op_sel_hi:[1,0,1] neg_lo:[0,0,1] neg_hi:[0,0,1]
	v_pk_add_f32 v[28:29], v[4:5], v[28:29]
	v_mov_b32_e32 v36, v34
	v_mov_b32_e32 v37, v33
	v_pk_add_f32 v[28:29], v[28:29], v[36:37]
	v_pk_add_f32 v[36:37], v[4:5], v[48:49]
	s_mov_b32 s10, 0xbf7d64f0
	v_pk_add_f32 v[36:37], v[36:37], v[60:61]
	v_pk_mul_f32 v[48:49], v[46:47], s[10:11] op_sel:[1,0] op_sel_hi:[0,0]
	v_pk_add_f32 v[36:37], v[36:37], v[30:31]
	v_pk_add_f32 v[30:31], v[30:31], v[56:57]
	;; [unrolled: 1-line block ×5, first 2 shown]
	v_mov_b32_e32 v25, v27
	v_pk_add_f32 v[36:37], v[36:37], v[62:63]
	v_pk_add_f32 v[42:43], v[38:39], v[62:63] neg_lo:[0,1] neg_hi:[0,1]
	v_pk_add_f32 v[36:37], v[58:59], v[36:37]
	s_mov_b32 s16, 0xbe903f40
	v_pk_add_f32 v[36:37], v[56:57], v[36:37]
	v_mov_b32_e32 v33, v35
	v_pk_add_f32 v[36:37], v[50:51], v[36:37]
	v_pk_add_f32 v[24:25], v[4:5], v[24:25]
	;; [unrolled: 1-line block ×3, first 2 shown]
	global_store_dwordx2 v[66:67], v[36:37], off
	v_pk_fma_f32 v[36:37], v[30:31], s[4:5], v[48:49] op_sel_hi:[1,0,1]
	v_pk_fma_f32 v[48:49], v[30:31], s[4:5], v[48:49] op_sel_hi:[1,0,1] neg_lo:[0,0,1] neg_hi:[0,0,1]
	v_mov_b32_e32 v50, v36
	v_mov_b32_e32 v51, v49
	v_pk_add_f32 v[28:29], v[28:29], v[50:51]
	v_pk_mul_f32 v[50:51], v[44:45], s[12:13] op_sel:[1,0] op_sel_hi:[0,0]
	v_pk_fma_f32 v[52:53], v[40:41], s[8:9], v[50:51] op_sel_hi:[1,0,1]
	v_pk_fma_f32 v[50:51], v[40:41], s[8:9], v[50:51] op_sel_hi:[1,0,1] neg_lo:[0,0,1] neg_hi:[0,0,1]
	v_mov_b32_e32 v54, v52
	v_mov_b32_e32 v55, v51
	v_pk_add_f32 v[38:39], v[38:39], v[62:63]
	v_pk_add_f32 v[28:29], v[28:29], v[54:55]
	v_pk_mul_f32 v[54:55], v[42:43], s[16:17] op_sel:[1,0] op_sel_hi:[0,0]
	v_pk_add_f32 v[24:25], v[24:25], v[32:33]
	v_mov_b32_e32 v49, v37
	v_pk_fma_f32 v[56:57], v[38:39], s[14:15], v[54:55] op_sel_hi:[1,0,1]
	v_pk_fma_f32 v[54:55], v[38:39], s[14:15], v[54:55] op_sel_hi:[1,0,1] neg_lo:[0,0,1] neg_hi:[0,0,1]
	v_pk_add_f32 v[24:25], v[24:25], v[48:49]
	v_mov_b32_e32 v51, v53
	v_mov_b32_e32 v59, v55
	v_pk_add_f32 v[24:25], v[24:25], v[50:51]
	v_mov_b32_e32 v55, v57
	v_pk_add_f32 v[24:25], v[24:25], v[54:55]
	global_store_dwordx2 v[68:69], v[24:25], off
	v_pk_mul_f32 v[24:25], v[20:21], s[18:19] op_sel:[1,0] op_sel_hi:[0,0]
	v_pk_mul_f32 v[26:27], v[22:23], s[12:13] op_sel:[1,0] op_sel_hi:[0,0]
	v_pk_fma_f32 v[34:35], v[18:19], s[0:1], v[24:25] op_sel_hi:[1,0,1]
	v_pk_fma_f32 v[24:25], v[18:19], s[0:1], v[24:25] op_sel_hi:[1,0,1] neg_lo:[0,0,1] neg_hi:[0,0,1]
	v_mov_b32_e32 v36, v34
	v_mov_b32_e32 v37, v25
	v_pk_fma_f32 v[48:49], v[16:17], s[8:9], v[26:27] op_sel_hi:[1,0,1]
	v_pk_fma_f32 v[26:27], v[16:17], s[8:9], v[26:27] op_sel_hi:[1,0,1] neg_lo:[0,0,1] neg_hi:[0,0,1]
	v_pk_mul_f32 v[32:33], v[46:47], s[22:23] op_sel:[1,0] op_sel_hi:[0,0]
	v_pk_add_f32 v[36:37], v[4:5], v[36:37]
	v_mov_b32_e32 v50, v48
	v_mov_b32_e32 v51, v27
	v_pk_add_f32 v[36:37], v[36:37], v[50:51]
	v_pk_fma_f32 v[50:51], v[30:31], s[14:15], v[32:33] op_sel_hi:[1,0,1]
	v_pk_fma_f32 v[32:33], v[30:31], s[14:15], v[32:33] op_sel_hi:[1,0,1] neg_lo:[0,0,1] neg_hi:[0,0,1]
	v_mov_b32_e32 v52, v50
	v_mov_b32_e32 v53, v33
	v_pk_add_f32 v[36:37], v[36:37], v[52:53]
	v_pk_mul_f32 v[52:53], v[44:45], s[20:21] op_sel:[1,0] op_sel_hi:[0,0]
	v_pk_fma_f32 v[54:55], v[40:41], s[4:5], v[52:53] op_sel_hi:[1,0,1]
	v_pk_fma_f32 v[52:53], v[40:41], s[4:5], v[52:53] op_sel_hi:[1,0,1] neg_lo:[0,0,1] neg_hi:[0,0,1]
	v_mov_b32_e32 v25, v35
	v_mov_b32_e32 v58, v56
	;; [unrolled: 1-line block ×4, first 2 shown]
	s_mov_b32 s18, 0x3f0a6770
	v_mov_b32_e32 v27, v49
	v_pk_add_f32 v[24:25], v[4:5], v[24:25]
	v_pk_add_f32 v[36:37], v[36:37], v[56:57]
	v_pk_mul_f32 v[56:57], v[42:43], s[18:19] op_sel:[1,0] op_sel_hi:[0,0]
	v_pk_add_f32 v[24:25], v[24:25], v[26:27]
	v_mov_b32_e32 v33, v51
	v_pk_add_f32 v[28:29], v[28:29], v[58:59]
	v_pk_fma_f32 v[58:59], v[38:39], s[2:3], v[56:57] op_sel_hi:[1,0,1]
	v_pk_fma_f32 v[56:57], v[38:39], s[2:3], v[56:57] op_sel_hi:[1,0,1] neg_lo:[0,0,1] neg_hi:[0,0,1]
	v_pk_add_f32 v[24:25], v[24:25], v[32:33]
	v_mov_b32_e32 v53, v55
	v_mov_b32_e32 v61, v57
	v_pk_add_f32 v[24:25], v[24:25], v[52:53]
	v_mov_b32_e32 v57, v59
	v_pk_add_f32 v[24:25], v[24:25], v[56:57]
	global_store_dwordx2 v[70:71], v[24:25], off
	v_pk_mul_f32 v[24:25], v[20:21], s[10:11] op_sel:[1,0] op_sel_hi:[0,0]
	v_pk_mul_f32 v[26:27], v[22:23], s[22:23] op_sel:[1,0] op_sel_hi:[0,0]
	v_pk_fma_f32 v[34:35], v[18:19], s[4:5], v[24:25] op_sel_hi:[1,0,1]
	v_pk_fma_f32 v[24:25], v[18:19], s[4:5], v[24:25] op_sel_hi:[1,0,1] neg_lo:[0,0,1] neg_hi:[0,0,1]
	s_mov_b32 s22, 0x3f68dda4
	v_mov_b32_e32 v48, v34
	v_mov_b32_e32 v49, v25
	v_pk_fma_f32 v[50:51], v[16:17], s[14:15], v[26:27] op_sel_hi:[1,0,1]
	v_pk_fma_f32 v[26:27], v[16:17], s[14:15], v[26:27] op_sel_hi:[1,0,1] neg_lo:[0,0,1] neg_hi:[0,0,1]
	v_pk_mul_f32 v[32:33], v[46:47], s[22:23] op_sel:[1,0] op_sel_hi:[0,0]
	v_pk_add_f32 v[48:49], v[4:5], v[48:49]
	v_mov_b32_e32 v52, v50
	v_mov_b32_e32 v53, v27
	v_pk_add_f32 v[48:49], v[48:49], v[52:53]
	v_pk_fma_f32 v[52:53], v[30:31], s[0:1], v[32:33] op_sel_hi:[1,0,1]
	v_pk_fma_f32 v[32:33], v[30:31], s[0:1], v[32:33] op_sel_hi:[1,0,1] neg_lo:[0,0,1] neg_hi:[0,0,1]
	v_mov_b32_e32 v54, v52
	v_mov_b32_e32 v55, v33
	v_pk_add_f32 v[48:49], v[48:49], v[54:55]
	v_pk_mul_f32 v[54:55], v[44:45], s[6:7] op_sel:[1,0] op_sel_hi:[0,0]
	v_pk_fma_f32 v[56:57], v[40:41], s[2:3], v[54:55] op_sel_hi:[1,0,1]
	v_pk_fma_f32 v[54:55], v[40:41], s[2:3], v[54:55] op_sel_hi:[1,0,1] neg_lo:[0,0,1] neg_hi:[0,0,1]
	v_mov_b32_e32 v25, v35
	v_mov_b32_e32 v60, v58
	;; [unrolled: 1-line block ×5, first 2 shown]
	v_pk_add_f32 v[24:25], v[4:5], v[24:25]
	v_pk_add_f32 v[48:49], v[48:49], v[58:59]
	v_pk_mul_f32 v[58:59], v[42:43], s[12:13] op_sel:[1,0] op_sel_hi:[0,0]
	v_pk_add_f32 v[24:25], v[24:25], v[26:27]
	v_mov_b32_e32 v33, v53
	v_pk_add_f32 v[36:37], v[36:37], v[60:61]
	v_pk_fma_f32 v[60:61], v[38:39], s[8:9], v[58:59] op_sel_hi:[1,0,1]
	v_pk_fma_f32 v[58:59], v[38:39], s[8:9], v[58:59] op_sel_hi:[1,0,1] neg_lo:[0,0,1] neg_hi:[0,0,1]
	v_pk_add_f32 v[24:25], v[24:25], v[32:33]
	v_mov_b32_e32 v55, v57
	v_mov_b32_e32 v63, v59
	v_pk_add_f32 v[24:25], v[24:25], v[54:55]
	v_mov_b32_e32 v59, v61
	v_pk_add_f32 v[24:25], v[24:25], v[58:59]
	global_store_dwordx2 v[72:73], v[24:25], off
	v_pk_mul_f32 v[24:25], v[20:21], s[12:13] op_sel:[1,0] op_sel_hi:[0,0]
	v_pk_mul_f32 v[26:27], v[22:23], s[20:21] op_sel:[1,0] op_sel_hi:[0,0]
	v_pk_fma_f32 v[34:35], v[18:19], s[8:9], v[24:25] op_sel_hi:[1,0,1]
	v_pk_fma_f32 v[24:25], v[18:19], s[8:9], v[24:25] op_sel_hi:[1,0,1] neg_lo:[0,0,1] neg_hi:[0,0,1]
	v_mov_b32_e32 v50, v34
	v_mov_b32_e32 v51, v25
	v_pk_fma_f32 v[52:53], v[16:17], s[4:5], v[26:27] op_sel_hi:[1,0,1]
	v_pk_fma_f32 v[26:27], v[16:17], s[4:5], v[26:27] op_sel_hi:[1,0,1] neg_lo:[0,0,1] neg_hi:[0,0,1]
	v_pk_mul_f32 v[32:33], v[46:47], s[6:7] op_sel:[1,0] op_sel_hi:[0,0]
	v_pk_add_f32 v[50:51], v[4:5], v[50:51]
	v_mov_b32_e32 v54, v52
	v_mov_b32_e32 v55, v27
	v_pk_add_f32 v[50:51], v[50:51], v[54:55]
	v_pk_fma_f32 v[54:55], v[30:31], s[2:3], v[32:33] op_sel_hi:[1,0,1]
	v_pk_fma_f32 v[32:33], v[30:31], s[2:3], v[32:33] op_sel_hi:[1,0,1] neg_lo:[0,0,1] neg_hi:[0,0,1]
	v_mov_b32_e32 v56, v54
	v_mov_b32_e32 v57, v33
	v_pk_add_f32 v[50:51], v[50:51], v[56:57]
	v_pk_mul_f32 v[56:57], v[44:45], s[16:17] op_sel:[1,0] op_sel_hi:[0,0]
	v_pk_fma_f32 v[58:59], v[40:41], s[14:15], v[56:57] op_sel_hi:[1,0,1]
	v_pk_fma_f32 v[56:57], v[40:41], s[14:15], v[56:57] op_sel_hi:[1,0,1] neg_lo:[0,0,1] neg_hi:[0,0,1]
	v_mov_b32_e32 v25, v35
	v_mov_b32_e32 v62, v60
	;; [unrolled: 1-line block ×5, first 2 shown]
	v_pk_add_f32 v[24:25], v[4:5], v[24:25]
	v_pk_add_f32 v[50:51], v[50:51], v[60:61]
	v_pk_mul_f32 v[60:61], v[42:43], s[22:23] op_sel:[1,0] op_sel_hi:[0,0]
	v_pk_add_f32 v[24:25], v[24:25], v[26:27]
	v_mov_b32_e32 v33, v55
	v_pk_add_f32 v[48:49], v[48:49], v[62:63]
	v_pk_fma_f32 v[62:63], v[38:39], s[0:1], v[60:61] op_sel_hi:[1,0,1]
	v_pk_fma_f32 v[60:61], v[38:39], s[0:1], v[60:61] op_sel_hi:[1,0,1] neg_lo:[0,0,1] neg_hi:[0,0,1]
	v_pk_add_f32 v[24:25], v[24:25], v[32:33]
	v_mov_b32_e32 v57, v59
	v_mov_b32_e32 v65, v61
	v_pk_add_f32 v[24:25], v[24:25], v[56:57]
	v_mov_b32_e32 v61, v63
	v_pk_add_f32 v[24:25], v[24:25], v[60:61]
	global_store_dwordx2 v[14:15], v[24:25], off
	v_pk_mul_f32 v[14:15], v[20:21], s[16:17] op_sel:[1,0] op_sel_hi:[0,0]
	v_pk_mul_f32 v[20:21], v[22:23], s[18:19] op_sel:[1,0] op_sel_hi:[0,0]
	v_pk_fma_f32 v[32:33], v[18:19], s[14:15], v[14:15] op_sel_hi:[1,0,1]
	v_pk_fma_f32 v[14:15], v[18:19], s[14:15], v[14:15] op_sel_hi:[1,0,1] neg_lo:[0,0,1] neg_hi:[0,0,1]
	v_mov_b32_e32 v18, v32
	v_mov_b32_e32 v19, v15
	v_pk_fma_f32 v[34:35], v[16:17], s[2:3], v[20:21] op_sel_hi:[1,0,1]
	v_pk_fma_f32 v[16:17], v[16:17], s[2:3], v[20:21] op_sel_hi:[1,0,1] neg_lo:[0,0,1] neg_hi:[0,0,1]
	v_pk_mul_f32 v[22:23], v[46:47], s[12:13] op_sel:[1,0] op_sel_hi:[0,0]
	v_pk_add_f32 v[18:19], v[4:5], v[18:19]
	v_mov_b32_e32 v20, v34
	v_mov_b32_e32 v21, v17
	v_pk_add_f32 v[18:19], v[18:19], v[20:21]
	v_pk_fma_f32 v[20:21], v[30:31], s[8:9], v[22:23] op_sel_hi:[1,0,1]
	v_pk_fma_f32 v[22:23], v[30:31], s[8:9], v[22:23] op_sel_hi:[1,0,1] neg_lo:[0,0,1] neg_hi:[0,0,1]
	v_pk_mul_f32 v[24:25], v[44:45], s[22:23] op_sel:[1,0] op_sel_hi:[0,0]
	v_mov_b32_e32 v30, v20
	v_mov_b32_e32 v31, v23
	;; [unrolled: 1-line block ×3, first 2 shown]
	v_pk_add_f32 v[18:19], v[18:19], v[30:31]
	v_pk_fma_f32 v[30:31], v[40:41], s[0:1], v[24:25] op_sel_hi:[1,0,1]
	v_pk_fma_f32 v[24:25], v[40:41], s[0:1], v[24:25] op_sel_hi:[1,0,1] neg_lo:[0,0,1] neg_hi:[0,0,1]
	v_pk_add_f32 v[4:5], v[4:5], v[14:15]
	v_mov_b32_e32 v17, v35
	v_pk_mul_f32 v[26:27], v[42:43], s[10:11] op_sel:[1,0] op_sel_hi:[0,0]
	v_mov_b32_e32 v40, v30
	v_mov_b32_e32 v41, v25
	v_pk_add_f32 v[4:5], v[4:5], v[16:17]
	v_mov_b32_e32 v23, v21
	v_pk_add_f32 v[18:19], v[18:19], v[40:41]
	v_pk_fma_f32 v[40:41], v[38:39], s[4:5], v[26:27] op_sel_hi:[1,0,1]
	v_pk_fma_f32 v[26:27], v[38:39], s[4:5], v[26:27] op_sel_hi:[1,0,1] neg_lo:[0,0,1] neg_hi:[0,0,1]
	v_pk_add_f32 v[4:5], v[4:5], v[22:23]
	v_mov_b32_e32 v25, v31
	v_mov_b32_e32 v39, v27
	v_pk_add_f32 v[4:5], v[4:5], v[24:25]
	v_mov_b32_e32 v27, v41
	v_mov_b32_e32 v64, v62
	v_mov_b32_e32 v38, v40
	v_pk_add_f32 v[4:5], v[4:5], v[26:27]
	v_pk_add_f32 v[50:51], v[50:51], v[64:65]
	;; [unrolled: 1-line block ×3, first 2 shown]
	global_store_dwordx2 v[0:1], v[4:5], off
	global_store_dwordx2 v[2:3], v[18:19], off
	;; [unrolled: 1-line block ×6, first 2 shown]
.LBB0_21:
	s_endpgm
	.section	.rodata,"a",@progbits
	.p2align	6, 0x0
	.amdhsa_kernel fft_rtc_fwd_len1617_factors_3_7_7_11_wgs_231_tpt_231_sp_op_CI_CI_sbrr_dirReg
		.amdhsa_group_segment_fixed_size 0
		.amdhsa_private_segment_fixed_size 0
		.amdhsa_kernarg_size 104
		.amdhsa_user_sgpr_count 2
		.amdhsa_user_sgpr_dispatch_ptr 0
		.amdhsa_user_sgpr_queue_ptr 0
		.amdhsa_user_sgpr_kernarg_segment_ptr 1
		.amdhsa_user_sgpr_dispatch_id 0
		.amdhsa_user_sgpr_kernarg_preload_length 0
		.amdhsa_user_sgpr_kernarg_preload_offset 0
		.amdhsa_user_sgpr_private_segment_size 0
		.amdhsa_uses_dynamic_stack 0
		.amdhsa_enable_private_segment 0
		.amdhsa_system_sgpr_workgroup_id_x 1
		.amdhsa_system_sgpr_workgroup_id_y 0
		.amdhsa_system_sgpr_workgroup_id_z 0
		.amdhsa_system_sgpr_workgroup_info 0
		.amdhsa_system_vgpr_workitem_id 0
		.amdhsa_next_free_vgpr 74
		.amdhsa_next_free_sgpr 32
		.amdhsa_accum_offset 76
		.amdhsa_reserve_vcc 1
		.amdhsa_float_round_mode_32 0
		.amdhsa_float_round_mode_16_64 0
		.amdhsa_float_denorm_mode_32 3
		.amdhsa_float_denorm_mode_16_64 3
		.amdhsa_dx10_clamp 1
		.amdhsa_ieee_mode 1
		.amdhsa_fp16_overflow 0
		.amdhsa_tg_split 0
		.amdhsa_exception_fp_ieee_invalid_op 0
		.amdhsa_exception_fp_denorm_src 0
		.amdhsa_exception_fp_ieee_div_zero 0
		.amdhsa_exception_fp_ieee_overflow 0
		.amdhsa_exception_fp_ieee_underflow 0
		.amdhsa_exception_fp_ieee_inexact 0
		.amdhsa_exception_int_div_zero 0
	.end_amdhsa_kernel
	.text
.Lfunc_end0:
	.size	fft_rtc_fwd_len1617_factors_3_7_7_11_wgs_231_tpt_231_sp_op_CI_CI_sbrr_dirReg, .Lfunc_end0-fft_rtc_fwd_len1617_factors_3_7_7_11_wgs_231_tpt_231_sp_op_CI_CI_sbrr_dirReg
                                        ; -- End function
	.section	.AMDGPU.csdata,"",@progbits
; Kernel info:
; codeLenInByte = 6824
; NumSgprs: 38
; NumVgprs: 74
; NumAgprs: 0
; TotalNumVgprs: 74
; ScratchSize: 0
; MemoryBound: 0
; FloatMode: 240
; IeeeMode: 1
; LDSByteSize: 0 bytes/workgroup (compile time only)
; SGPRBlocks: 4
; VGPRBlocks: 9
; NumSGPRsForWavesPerEU: 38
; NumVGPRsForWavesPerEU: 74
; AccumOffset: 76
; Occupancy: 6
; WaveLimiterHint : 1
; COMPUTE_PGM_RSRC2:SCRATCH_EN: 0
; COMPUTE_PGM_RSRC2:USER_SGPR: 2
; COMPUTE_PGM_RSRC2:TRAP_HANDLER: 0
; COMPUTE_PGM_RSRC2:TGID_X_EN: 1
; COMPUTE_PGM_RSRC2:TGID_Y_EN: 0
; COMPUTE_PGM_RSRC2:TGID_Z_EN: 0
; COMPUTE_PGM_RSRC2:TIDIG_COMP_CNT: 0
; COMPUTE_PGM_RSRC3_GFX90A:ACCUM_OFFSET: 18
; COMPUTE_PGM_RSRC3_GFX90A:TG_SPLIT: 0
	.text
	.p2alignl 6, 3212836864
	.fill 256, 4, 3212836864
	.type	__hip_cuid_e552342c161e3b4e,@object ; @__hip_cuid_e552342c161e3b4e
	.section	.bss,"aw",@nobits
	.globl	__hip_cuid_e552342c161e3b4e
__hip_cuid_e552342c161e3b4e:
	.byte	0                               ; 0x0
	.size	__hip_cuid_e552342c161e3b4e, 1

	.ident	"AMD clang version 19.0.0git (https://github.com/RadeonOpenCompute/llvm-project roc-6.4.0 25133 c7fe45cf4b819c5991fe208aaa96edf142730f1d)"
	.section	".note.GNU-stack","",@progbits
	.addrsig
	.addrsig_sym __hip_cuid_e552342c161e3b4e
	.amdgpu_metadata
---
amdhsa.kernels:
  - .agpr_count:     0
    .args:
      - .actual_access:  read_only
        .address_space:  global
        .offset:         0
        .size:           8
        .value_kind:     global_buffer
      - .offset:         8
        .size:           8
        .value_kind:     by_value
      - .actual_access:  read_only
        .address_space:  global
        .offset:         16
        .size:           8
        .value_kind:     global_buffer
      - .actual_access:  read_only
        .address_space:  global
        .offset:         24
        .size:           8
        .value_kind:     global_buffer
      - .actual_access:  read_only
        .address_space:  global
        .offset:         32
        .size:           8
        .value_kind:     global_buffer
      - .offset:         40
        .size:           8
        .value_kind:     by_value
      - .actual_access:  read_only
        .address_space:  global
        .offset:         48
        .size:           8
        .value_kind:     global_buffer
      - .actual_access:  read_only
        .address_space:  global
        .offset:         56
        .size:           8
        .value_kind:     global_buffer
      - .offset:         64
        .size:           4
        .value_kind:     by_value
      - .actual_access:  read_only
        .address_space:  global
        .offset:         72
        .size:           8
        .value_kind:     global_buffer
      - .actual_access:  read_only
        .address_space:  global
        .offset:         80
        .size:           8
        .value_kind:     global_buffer
      - .actual_access:  read_only
        .address_space:  global
        .offset:         88
        .size:           8
        .value_kind:     global_buffer
      - .actual_access:  write_only
        .address_space:  global
        .offset:         96
        .size:           8
        .value_kind:     global_buffer
    .group_segment_fixed_size: 0
    .kernarg_segment_align: 8
    .kernarg_segment_size: 104
    .language:       OpenCL C
    .language_version:
      - 2
      - 0
    .max_flat_workgroup_size: 231
    .name:           fft_rtc_fwd_len1617_factors_3_7_7_11_wgs_231_tpt_231_sp_op_CI_CI_sbrr_dirReg
    .private_segment_fixed_size: 0
    .sgpr_count:     38
    .sgpr_spill_count: 0
    .symbol:         fft_rtc_fwd_len1617_factors_3_7_7_11_wgs_231_tpt_231_sp_op_CI_CI_sbrr_dirReg.kd
    .uniform_work_group_size: 1
    .uses_dynamic_stack: false
    .vgpr_count:     74
    .vgpr_spill_count: 0
    .wavefront_size: 64
amdhsa.target:   amdgcn-amd-amdhsa--gfx950
amdhsa.version:
  - 1
  - 2
...

	.end_amdgpu_metadata
